;; amdgpu-corpus repo=ROCm/rocFFT kind=compiled arch=gfx1100 opt=O3
	.text
	.amdgcn_target "amdgcn-amd-amdhsa--gfx1100"
	.amdhsa_code_object_version 6
	.protected	bluestein_single_back_len270_dim1_dp_op_CI_CI ; -- Begin function bluestein_single_back_len270_dim1_dp_op_CI_CI
	.globl	bluestein_single_back_len270_dim1_dp_op_CI_CI
	.p2align	8
	.type	bluestein_single_back_len270_dim1_dp_op_CI_CI,@function
bluestein_single_back_len270_dim1_dp_op_CI_CI: ; @bluestein_single_back_len270_dim1_dp_op_CI_CI
; %bb.0:
	s_load_b128 s[16:19], s[0:1], 0x28
	v_mul_u32_u24_e32 v1, 0x97c, v0
	v_mov_b32_e32 v185, 0
	s_mov_b32 s2, exec_lo
	s_delay_alu instid0(VALU_DEP_2) | instskip(NEXT) | instid1(VALU_DEP_1)
	v_lshrrev_b32_e32 v41, 16, v1
	v_lshl_add_u32 v184, s15, 2, v41
	s_waitcnt lgkmcnt(0)
	s_delay_alu instid0(VALU_DEP_1)
	v_cmpx_gt_u64_e64 s[16:17], v[184:185]
	s_cbranch_execz .LBB0_26
; %bb.1:
	s_clause 0x1
	s_load_b128 s[4:7], s[0:1], 0x18
	s_load_b128 s[8:11], s[0:1], 0x0
	v_mul_lo_u16 v1, v41, 27
	v_and_b32_e32 v41, 3, v41
	s_mov_b32 s16, 0x4755a5e
	s_mov_b32 s17, 0x3fe2cf23
	;; [unrolled: 1-line block ×3, first 2 shown]
	v_sub_nc_u16 v40, v0, v1
	v_mul_u32_u24_e32 v41, 0x10e, v41
	s_mov_b32 s21, 0x3fe9e377
	s_delay_alu instid0(VALU_DEP_2) | instskip(NEXT) | instid1(VALU_DEP_2)
	v_and_b32_e32 v189, 0xffff, v40
	v_lshlrev_b32_e32 v191, 4, v41
	s_waitcnt lgkmcnt(0)
	s_load_b128 s[12:15], s[4:5], 0x0
	s_waitcnt lgkmcnt(0)
	v_mad_u64_u32 v[8:9], null, s12, v189, 0
	v_mad_u64_u32 v[0:1], null, s14, v184, 0
	s_mul_i32 s3, s13, 0x1b0
	s_mul_hi_u32 s4, s12, 0x1b0
	s_mul_i32 s2, s12, 0x1b0
	s_add_i32 s3, s4, s3
	s_delay_alu instid0(VALU_DEP_2) | instskip(SKIP_2) | instid1(VALU_DEP_2)
	v_mov_b32_e32 v2, v9
	s_mov_b32 s14, s16
	v_lshlrev_b32_e32 v198, 4, v189
	v_mad_u64_u32 v[3:4], null, s15, v184, v[1:2]
	s_mov_b32 s15, 0xbfe2cf23
	s_delay_alu instid0(VALU_DEP_2) | instskip(NEXT) | instid1(VALU_DEP_2)
	v_add_nc_u32_e32 v190, v191, v198
	v_mad_u64_u32 v[4:5], null, s13, v189, v[2:3]
	v_mov_b32_e32 v1, v3
	s_mov_b32 s12, 0x134454ff
	s_mov_b32 s13, 0x3fee6f0e
	s_delay_alu instid0(VALU_DEP_1) | instskip(NEXT) | instid1(VALU_DEP_3)
	v_lshlrev_b64 v[10:11], 4, v[0:1]
	v_mov_b32_e32 v9, v4
	s_clause 0x1
	global_load_b128 v[0:3], v198, s[8:9]
	global_load_b128 v[4:7], v198, s[8:9] offset:432
	v_add_co_u32 v10, vcc_lo, s18, v10
	v_lshlrev_b64 v[8:9], 4, v[8:9]
	v_add_co_ci_u32_e32 v11, vcc_lo, s19, v11, vcc_lo
	s_mov_b32 s18, 0x372fe950
	s_mov_b32 s19, 0x3fd3c6ef
	s_delay_alu instid0(VALU_DEP_2) | instskip(NEXT) | instid1(VALU_DEP_2)
	v_add_co_u32 v32, vcc_lo, v10, v8
	v_add_co_ci_u32_e32 v33, vcc_lo, v11, v9, vcc_lo
	s_clause 0x1
	global_load_b128 v[8:11], v198, s[8:9] offset:864
	global_load_b128 v[12:15], v198, s[8:9] offset:1296
	v_add_co_u32 v34, vcc_lo, v32, s2
	v_add_co_ci_u32_e32 v35, vcc_lo, s3, v33, vcc_lo
	s_clause 0x1
	global_load_b128 v[16:19], v198, s[8:9] offset:1728
	global_load_b128 v[20:23], v198, s[8:9] offset:2160
	;; [unrolled: 5-line block ×3, first 2 shown]
	v_add_co_u32 v38, vcc_lo, v36, s2
	v_add_co_ci_u32_e32 v39, vcc_lo, s3, v37, vcc_lo
	s_clause 0x1
	global_load_b128 v[42:45], v[32:33], off
	global_load_b128 v[46:49], v[34:35], off
	v_add_co_u32 v58, vcc_lo, v38, s2
	v_add_co_ci_u32_e32 v59, vcc_lo, s3, v39, vcc_lo
	s_clause 0x1
	global_load_b128 v[50:53], v[36:37], off
	global_load_b128 v[54:57], v[38:39], off
	v_add_co_u32 v32, vcc_lo, v58, s2
	v_add_co_ci_u32_e32 v33, vcc_lo, s3, v59, vcc_lo
	global_load_b128 v[58:61], v[58:59], off
	v_add_co_u32 v34, vcc_lo, v32, s2
	v_add_co_ci_u32_e32 v35, vcc_lo, s3, v33, vcc_lo
	;; [unrolled: 3-line block ×4, first 2 shown]
	s_delay_alu instid0(VALU_DEP_2) | instskip(NEXT) | instid1(VALU_DEP_2)
	v_add_co_u32 v78, vcc_lo, v32, s2
	v_add_co_ci_u32_e32 v79, vcc_lo, s3, v33, vcc_lo
	global_load_b128 v[70:73], v[36:37], off
	global_load_b128 v[74:77], v[32:33], off
	s_clause 0x1
	global_load_b128 v[32:35], v198, s[8:9] offset:3456
	global_load_b128 v[36:39], v198, s[8:9] offset:3888
	global_load_b128 v[78:81], v[78:79], off
	s_load_b128 s[4:7], s[6:7], 0x0
	s_mov_b32 s3, 0xbfee6f0e
	s_mov_b32 s2, s12
	v_cmp_gt_u16_e32 vcc_lo, 9, v40
	s_waitcnt vmcnt(11)
	v_mul_f64 v[82:83], v[44:45], v[2:3]
	v_mul_f64 v[84:85], v[42:43], v[2:3]
	s_waitcnt vmcnt(10)
	v_mul_f64 v[86:87], v[48:49], v[6:7]
	v_mul_f64 v[88:89], v[46:47], v[6:7]
	s_waitcnt vmcnt(9)
	v_mul_f64 v[90:91], v[52:53], v[10:11]
	v_mul_f64 v[92:93], v[50:51], v[10:11]
	s_waitcnt vmcnt(8)
	v_mul_f64 v[94:95], v[56:57], v[14:15]
	v_mul_f64 v[96:97], v[54:55], v[14:15]
	s_waitcnt vmcnt(7)
	v_mul_f64 v[98:99], v[60:61], v[18:19]
	v_mul_f64 v[100:101], v[58:59], v[18:19]
	s_waitcnt vmcnt(6)
	v_mul_f64 v[102:103], v[64:65], v[22:23]
	v_mul_f64 v[104:105], v[62:63], v[22:23]
	s_waitcnt vmcnt(5)
	v_mul_f64 v[106:107], v[68:69], v[26:27]
	v_mul_f64 v[108:109], v[66:67], v[26:27]
	s_waitcnt vmcnt(4)
	v_mul_f64 v[110:111], v[72:73], v[30:31]
	v_mul_f64 v[112:113], v[70:71], v[30:31]
	s_waitcnt vmcnt(2)
	v_mul_f64 v[114:115], v[76:77], v[34:35]
	v_mul_f64 v[116:117], v[74:75], v[34:35]
	s_waitcnt vmcnt(0)
	v_mul_f64 v[118:119], v[80:81], v[38:39]
	v_mul_f64 v[120:121], v[78:79], v[38:39]
	v_fma_f64 v[42:43], v[42:43], v[0:1], v[82:83]
	v_fma_f64 v[44:45], v[44:45], v[0:1], -v[84:85]
	v_fma_f64 v[46:47], v[46:47], v[4:5], v[86:87]
	v_fma_f64 v[48:49], v[48:49], v[4:5], -v[88:89]
	;; [unrolled: 2-line block ×10, first 2 shown]
	ds_store_b128 v190, v[42:45]
	ds_store_b128 v190, v[46:49] offset:432
	ds_store_b128 v190, v[50:53] offset:864
	ds_store_b128 v190, v[54:57] offset:1296
	ds_store_b128 v190, v[58:61] offset:1728
	ds_store_b128 v190, v[62:65] offset:2160
	ds_store_b128 v190, v[66:69] offset:2592
	ds_store_b128 v190, v[70:73] offset:3024
	ds_store_b128 v190, v[74:77] offset:3456
	ds_store_b128 v190, v[78:81] offset:3888
	s_waitcnt lgkmcnt(0)
	s_barrier
	buffer_gl0_inv
	ds_load_b128 v[41:44], v190 offset:1296
	ds_load_b128 v[45:48], v190 offset:2160
	;; [unrolled: 1-line block ×5, first 2 shown]
	s_waitcnt lgkmcnt(3)
	v_add_f64 v[105:106], v[41:42], -v[45:46]
	s_waitcnt lgkmcnt(2)
	v_add_f64 v[61:62], v[45:46], v[49:50]
	s_waitcnt lgkmcnt(1)
	v_add_f64 v[63:64], v[43:44], v[55:56]
	v_add_f64 v[65:66], v[41:42], v[53:54]
	;; [unrolled: 1-line block ×3, first 2 shown]
	v_add_f64 v[81:82], v[43:44], -v[55:56]
	v_add_f64 v[83:84], v[47:48], -v[51:52]
	;; [unrolled: 1-line block ×11, first 2 shown]
	s_waitcnt lgkmcnt(0)
	v_add_f64 v[41:42], v[57:58], v[41:42]
	v_add_f64 v[43:44], v[59:60], v[43:44]
	v_fma_f64 v[87:88], v[61:62], -0.5, v[57:58]
	v_fma_f64 v[89:90], v[63:64], -0.5, v[59:60]
	;; [unrolled: 1-line block ×4, first 2 shown]
	ds_load_b128 v[61:64], v190 offset:864
	ds_load_b128 v[65:68], v190 offset:1728
	ds_load_b128 v[69:72], v190 offset:2592
	ds_load_b128 v[73:76], v190 offset:3456
	ds_load_b128 v[77:80], v190
	s_waitcnt lgkmcnt(0)
	s_barrier
	buffer_gl0_inv
	v_add_f64 v[41:42], v[41:42], v[45:46]
	v_add_f64 v[43:44], v[43:44], v[47:48]
	;; [unrolled: 1-line block ×8, first 2 shown]
	v_add_f64 v[131:132], v[63:64], -v[75:76]
	v_add_f64 v[133:134], v[67:68], -v[71:72]
	;; [unrolled: 1-line block ×4, first 2 shown]
	v_fma_f64 v[119:120], v[81:82], s[12:13], v[87:88]
	v_fma_f64 v[121:122], v[85:86], s[12:13], v[89:90]
	;; [unrolled: 1-line block ×8, first 2 shown]
	v_add_f64 v[41:42], v[41:42], v[49:50]
	v_add_f64 v[43:44], v[43:44], v[51:52]
	v_fma_f64 v[57:58], v[97:98], -0.5, v[77:78]
	v_fma_f64 v[77:78], v[99:100], -0.5, v[77:78]
	v_fma_f64 v[97:98], v[101:102], -0.5, v[79:80]
	v_fma_f64 v[79:80], v[103:104], -0.5, v[79:80]
	v_add_f64 v[99:100], v[105:106], v[107:108]
	v_add_f64 v[101:102], v[109:110], v[111:112]
	;; [unrolled: 1-line block ×3, first 2 shown]
	v_add_f64 v[115:116], v[63:64], -v[67:68]
	v_add_f64 v[63:64], v[67:68], -v[63:64]
	v_add_f64 v[67:68], v[135:136], v[67:68]
	v_add_f64 v[111:112], v[73:74], -v[69:70]
	v_add_f64 v[113:114], v[69:70], -v[73:74]
	v_fma_f64 v[105:106], v[83:84], s[16:17], v[119:120]
	v_fma_f64 v[107:108], v[93:94], s[14:15], v[121:122]
	;; [unrolled: 1-line block ×6, first 2 shown]
	v_add_f64 v[87:88], v[117:118], v[125:126]
	v_fma_f64 v[91:92], v[85:86], s[16:17], v[127:128]
	v_add_f64 v[93:94], v[61:62], -v[65:66]
	v_add_f64 v[61:62], v[65:66], -v[61:62]
	v_add_f64 v[65:66], v[129:130], v[65:66]
	v_add_f64 v[117:118], v[75:76], -v[71:72]
	v_add_f64 v[119:120], v[71:72], -v[75:76]
	v_fma_f64 v[85:86], v[85:86], s[14:15], v[95:96]
	v_add_f64 v[53:54], v[41:42], v[53:54]
	v_add_f64 v[55:56], v[43:44], v[55:56]
	v_fma_f64 v[45:46], v[131:132], s[12:13], v[57:58]
	v_fma_f64 v[47:48], v[131:132], s[2:3], v[57:58]
	;; [unrolled: 1-line block ×8, first 2 shown]
	v_add_f64 v[67:68], v[67:68], v[71:72]
	v_fma_f64 v[95:96], v[99:100], s[18:19], v[105:106]
	v_fma_f64 v[105:106], v[103:104], s[18:19], v[107:108]
	;; [unrolled: 1-line block ×7, first 2 shown]
	v_add_f64 v[93:94], v[93:94], v[111:112]
	v_add_f64 v[61:62], v[61:62], v[113:114]
	;; [unrolled: 1-line block ×5, first 2 shown]
	v_fma_f64 v[45:46], v[133:134], s[16:17], v[45:46]
	v_fma_f64 v[47:48], v[133:134], s[14:15], v[47:48]
	;; [unrolled: 1-line block ×9, first 2 shown]
	v_add_f64 v[67:68], v[67:68], v[75:76]
	v_mul_f64 v[79:80], v[95:96], s[20:21]
	v_mul_f64 v[85:86], v[105:106], s[12:13]
	;; [unrolled: 1-line block ×8, first 2 shown]
	v_add_f64 v[65:66], v[65:66], v[73:74]
	v_fma_f64 v[73:74], v[93:94], s[18:19], v[45:46]
	v_fma_f64 v[93:94], v[93:94], s[18:19], v[47:48]
	;; [unrolled: 1-line block ×8, first 2 shown]
	v_add_f64 v[43:44], v[67:68], v[55:56]
	v_add_f64 v[47:48], v[67:68], -v[55:56]
	v_fma_f64 v[71:72], v[77:78], s[16:17], v[79:80]
	v_fma_f64 v[79:80], v[81:82], s[18:19], v[85:86]
	v_fma_f64 v[81:82], v[89:90], s[12:13], -v[87:88]
	v_fma_f64 v[87:88], v[77:78], s[20:21], v[95:96]
	v_fma_f64 v[89:90], v[105:106], s[18:19], v[101:102]
	v_fma_f64 v[85:86], v[91:92], s[16:17], -v[97:98]
	v_fma_f64 v[91:92], v[107:108], s[2:3], -v[103:104]
	;; [unrolled: 1-line block ×3, first 2 shown]
	s_load_b64 s[2:3], s[0:1], 0x38
	v_add_f64 v[41:42], v[65:66], v[53:54]
	v_add_f64 v[45:46], v[65:66], -v[53:54]
	v_add_f64 v[49:50], v[73:74], v[71:72]
	v_add_f64 v[53:54], v[75:76], v[79:80]
	;; [unrolled: 1-line block ×8, first 2 shown]
	v_add_f64 v[65:66], v[73:74], -v[71:72]
	v_add_f64 v[67:68], v[113:114], -v[87:88]
	;; [unrolled: 1-line block ×8, first 2 shown]
	v_mul_lo_u16 v69, v40, 10
                                        ; implicit-def: $vgpr112_vgpr113
                                        ; implicit-def: $vgpr116_vgpr117
	s_delay_alu instid0(VALU_DEP_1) | instskip(NEXT) | instid1(VALU_DEP_1)
	v_and_b32_e32 v69, 0xffff, v69
	v_lshl_add_u32 v192, v69, 4, v191
	ds_store_b128 v192, v[41:44]
	ds_store_b128 v192, v[49:52] offset:16
	ds_store_b128 v192, v[53:56] offset:32
	ds_store_b128 v192, v[57:60] offset:48
	ds_store_b128 v192, v[61:64] offset:64
	ds_store_b128 v192, v[45:48] offset:80
	ds_store_b128 v192, v[65:68] offset:96
	ds_store_b128 v192, v[76:79] offset:112
	ds_store_b128 v192, v[80:83] offset:128
	ds_store_b128 v192, v[72:75] offset:144
	s_waitcnt lgkmcnt(0)
	s_barrier
	buffer_gl0_inv
	ds_load_b128 v[80:83], v190
	ds_load_b128 v[76:79], v190 offset:432
	ds_load_b128 v[100:103], v190 offset:2880
	;; [unrolled: 1-line block ×8, first 2 shown]
	s_and_saveexec_b32 s0, vcc_lo
	s_cbranch_execz .LBB0_3
; %bb.2:
	ds_load_b128 v[72:75], v190 offset:1296
	ds_load_b128 v[112:115], v190 offset:2736
	ds_load_b128 v[116:119], v190 offset:4176
.LBB0_3:
	s_or_b32 exec_lo, exec_lo, s0
	v_and_b32_e32 v40, 0xff, v189
	v_add_co_u32 v187, s0, v189, 27
	s_delay_alu instid0(VALU_DEP_1) | instskip(SKIP_1) | instid1(VALU_DEP_4)
	v_add_co_ci_u32_e64 v188, null, 0, 0, s0
	v_add_co_u32 v185, s0, v189, 54
	v_mul_lo_u16 v40, 0xcd, v40
	v_add_co_ci_u32_e64 v186, null, 0, 0, s0
	v_add_co_u32 v201, s0, 0x51, v189
	s_delay_alu instid0(VALU_DEP_3) | instskip(SKIP_2) | instid1(VALU_DEP_4)
	v_lshrrev_b16 v158, 11, v40
	v_and_b32_e32 v40, 0xff, v187
	v_and_b32_e32 v153, 0xff, v185
	;; [unrolled: 1-line block ×3, first 2 shown]
	v_add_co_ci_u32_e64 v202, null, 0, 0, s0
	s_delay_alu instid0(VALU_DEP_4) | instskip(SKIP_1) | instid1(VALU_DEP_4)
	v_mul_lo_u16 v40, 0xcd, v40
	v_mul_lo_u16 v41, v158, 10
	;; [unrolled: 1-line block ×4, first 2 shown]
	s_mov_b32 s0, 0xe8584caa
	v_lshrrev_b16 v159, 11, v40
	v_sub_nc_u16 v160, v189, v41
	v_lshrrev_b16 v40, 11, v42
	v_lshrrev_b16 v161, 11, v43
	s_mov_b32 s1, 0x3febb67a
	v_mul_lo_u16 v41, v159, 10
	v_lshlrev_b16 v42, 1, v160
	v_mul_lo_u16 v40, v40, 10
	v_mul_lo_u16 v43, v161, 10
	s_mov_b32 s13, 0xbfebb67a
	v_sub_nc_u16 v41, v187, v41
	v_and_b32_e32 v42, 0xfe, v42
	v_sub_nc_u16 v162, v201, v40
	v_sub_nc_u16 v40, v185, v43
	s_mov_b32 s12, s0
	v_and_b32_e32 v163, 0xff, v41
	v_lshlrev_b32_e32 v41, 4, v42
	v_lshlrev_b16 v42, 1, v162
	v_and_b32_e32 v164, 0xff, v40
	s_clause 0x1
	global_load_b128 v[52:55], v41, s[10:11]
	global_load_b128 v[48:51], v41, s[10:11] offset:16
	v_and_b32_e32 v41, 0xfe, v42
	v_lshlrev_b32_e32 v40, 5, v163
	v_lshlrev_b32_e32 v42, 5, v164
	s_clause 0x1
	global_load_b128 v[60:63], v40, s[10:11]
	global_load_b128 v[56:59], v40, s[10:11] offset:16
	v_lshlrev_b32_e32 v64, 4, v41
	s_clause 0x3
	global_load_b128 v[44:47], v42, s[10:11]
	global_load_b128 v[40:43], v42, s[10:11] offset:16
	global_load_b128 v[68:71], v64, s[10:11]
	global_load_b128 v[64:67], v64, s[10:11] offset:16
	v_and_b32_e32 v196, 0xff, v162
	s_waitcnt vmcnt(0) lgkmcnt(0)
	s_barrier
	buffer_gl0_inv
	v_mul_f64 v[120:121], v[110:111], v[54:55]
	v_mul_f64 v[122:123], v[102:103], v[50:51]
	;; [unrolled: 1-line block ×16, first 2 shown]
	v_fma_f64 v[108:109], v[108:109], v[52:53], -v[120:121]
	v_fma_f64 v[100:101], v[100:101], v[48:49], -v[122:123]
	v_fma_f64 v[110:111], v[110:111], v[52:53], v[124:125]
	v_fma_f64 v[102:103], v[102:103], v[48:49], v[126:127]
	v_fma_f64 v[104:105], v[104:105], v[60:61], -v[128:129]
	v_fma_f64 v[88:89], v[88:89], v[56:57], -v[130:131]
	v_fma_f64 v[106:107], v[106:107], v[60:61], v[132:133]
	v_fma_f64 v[90:91], v[90:91], v[56:57], v[134:135]
	;; [unrolled: 4-line block ×4, first 2 shown]
	v_add_f64 v[136:137], v[80:81], v[108:109]
	v_add_f64 v[120:121], v[108:109], v[100:101]
	v_add_f64 v[108:109], v[108:109], -v[100:101]
	v_add_f64 v[122:123], v[110:111], v[102:103]
	v_add_f64 v[138:139], v[110:111], -v[102:103]
	v_add_f64 v[110:111], v[82:83], v[110:111]
	v_add_f64 v[140:141], v[76:77], v[104:105]
	;; [unrolled: 1-line block ×13, first 2 shown]
	v_add_f64 v[106:107], v[106:107], -v[90:91]
	v_add_f64 v[104:105], v[104:105], -v[88:89]
	v_add_f64 v[114:115], v[114:115], -v[118:119]
	v_add_f64 v[112:113], v[112:113], -v[116:117]
	v_add_f64 v[154:155], v[94:95], -v[98:99]
	v_add_f64 v[156:157], v[92:93], -v[96:97]
	v_fma_f64 v[120:121], v[120:121], -0.5, v[80:81]
	v_fma_f64 v[122:123], v[122:123], -0.5, v[82:83]
	v_add_f64 v[80:81], v[140:141], v[88:89]
	v_fma_f64 v[124:125], v[124:125], -0.5, v[76:77]
	v_add_f64 v[76:77], v[136:137], v[100:101]
	;; [unrolled: 2-line block ×7, first 2 shown]
	v_add_f64 v[74:75], v[150:151], v[118:119]
	v_fma_f64 v[88:89], v[138:139], s[0:1], v[120:121]
	v_fma_f64 v[92:93], v[138:139], s[12:13], v[120:121]
	;; [unrolled: 1-line block ×16, first 2 shown]
	v_mul_lo_u16 v112, v159, 30
	v_and_b32_e32 v113, 0xffff, v161
	v_mad_u16 v114, v158, 30, v160
	s_delay_alu instid0(VALU_DEP_3) | instskip(NEXT) | instid1(VALU_DEP_3)
	v_and_b32_e32 v112, 0xfe, v112
	v_mul_u32_u24_e32 v113, 30, v113
	s_delay_alu instid0(VALU_DEP_3) | instskip(NEXT) | instid1(VALU_DEP_3)
	v_and_b32_e32 v114, 0xff, v114
	v_add_nc_u32_e32 v112, v112, v163
	s_delay_alu instid0(VALU_DEP_3) | instskip(NEXT) | instid1(VALU_DEP_3)
	v_add_nc_u32_e32 v113, v113, v164
	v_lshl_add_u32 v197, v114, 4, v191
	s_delay_alu instid0(VALU_DEP_3) | instskip(NEXT) | instid1(VALU_DEP_3)
	v_lshl_add_u32 v195, v112, 4, v191
	v_lshl_add_u32 v194, v113, 4, v191
	ds_store_b128 v197, v[76:79]
	ds_store_b128 v197, v[88:91] offset:160
	ds_store_b128 v197, v[92:95] offset:320
	ds_store_b128 v195, v[80:83]
	ds_store_b128 v195, v[96:99] offset:160
	ds_store_b128 v195, v[100:103] offset:320
	;; [unrolled: 3-line block ×3, first 2 shown]
	s_and_saveexec_b32 s0, vcc_lo
	s_cbranch_execz .LBB0_5
; %bb.4:
	v_lshl_add_u32 v76, v196, 4, v191
	ds_store_b128 v76, v[72:75] offset:3840
	ds_store_b128 v76, v[120:123] offset:4000
	;; [unrolled: 1-line block ×3, first 2 shown]
.LBB0_5:
	s_or_b32 exec_lo, exec_lo, s0
	s_waitcnt lgkmcnt(0)
	s_barrier
	buffer_gl0_inv
	ds_load_b128 v[112:115], v190
	ds_load_b128 v[76:79], v190 offset:432
	ds_load_b128 v[140:143], v190 offset:2880
	;; [unrolled: 1-line block ×8, first 2 shown]
	s_and_saveexec_b32 s0, vcc_lo
	s_cbranch_execz .LBB0_7
; %bb.6:
	ds_load_b128 v[72:75], v190 offset:1296
	ds_load_b128 v[120:123], v190 offset:2736
	;; [unrolled: 1-line block ×3, first 2 shown]
.LBB0_7:
	s_or_b32 exec_lo, exec_lo, s0
	v_mul_lo_u16 v80, 0x89, v153
	v_mul_lo_u16 v83, 0x89, v152
	v_add_co_u32 v81, s0, v189, -3
	s_delay_alu instid0(VALU_DEP_1) | instskip(NEXT) | instid1(VALU_DEP_4)
	v_add_co_ci_u32_e64 v82, null, 0, -1, s0
	v_lshrrev_b16 v183, 12, v80
	v_cmp_gt_u16_e64 s0, 3, v189
	v_lshrrev_b16 v80, 12, v83
	v_lshlrev_b32_e32 v211, 5, v189
	s_clause 0x1
	global_load_b128 v[92:95], v211, s[10:11] offset:320
	global_load_b128 v[88:91], v211, s[10:11] offset:336
	v_cndmask_b32_e64 v161, v82, v188, s0
	v_mul_lo_u16 v82, v183, 30
	v_cndmask_b32_e64 v160, v81, v187, s0
	v_mul_lo_u16 v83, v80, 30
	s_delay_alu instid0(VALU_DEP_3) | instskip(NEXT) | instid1(VALU_DEP_3)
	v_sub_nc_u16 v82, v185, v82
	v_lshlrev_b64 v[80:81], 5, v[160:161]
	s_delay_alu instid0(VALU_DEP_3) | instskip(NEXT) | instid1(VALU_DEP_3)
	v_sub_nc_u16 v83, v201, v83
	v_and_b32_e32 v212, 0xff, v82
	s_delay_alu instid0(VALU_DEP_2) | instskip(NEXT) | instid1(VALU_DEP_4)
	v_and_b32_e32 v193, 0xff, v83
	v_add_co_u32 v80, s0, s10, v80
	s_delay_alu instid0(VALU_DEP_1) | instskip(NEXT) | instid1(VALU_DEP_4)
	v_add_co_ci_u32_e64 v81, s0, s11, v81, s0
	v_lshlrev_b32_e32 v82, 5, v212
	s_delay_alu instid0(VALU_DEP_4)
	v_lshlrev_b32_e32 v104, 5, v193
	s_clause 0x5
	global_load_b128 v[100:103], v[80:81], off offset:320
	global_load_b128 v[96:99], v[80:81], off offset:336
	global_load_b128 v[84:87], v82, s[10:11] offset:320
	global_load_b128 v[80:83], v82, s[10:11] offset:336
	;; [unrolled: 1-line block ×4, first 2 shown]
	s_mov_b32 s0, 0xe8584caa
	s_mov_b32 s1, 0x3febb67a
	;; [unrolled: 1-line block ×3, first 2 shown]
	s_waitcnt vmcnt(0) lgkmcnt(0)
	s_barrier
	buffer_gl0_inv
	v_mul_f64 v[152:153], v[150:151], v[94:95]
	v_mul_f64 v[154:155], v[142:143], v[90:91]
	;; [unrolled: 1-line block ×16, first 2 shown]
	v_fma_f64 v[148:149], v[148:149], v[92:93], -v[152:153]
	v_fma_f64 v[140:141], v[140:141], v[88:89], -v[154:155]
	v_fma_f64 v[150:151], v[150:151], v[92:93], v[156:157]
	v_fma_f64 v[142:143], v[142:143], v[88:89], v[158:159]
	v_fma_f64 v[144:145], v[144:145], v[100:101], -v[161:162]
	v_fma_f64 v[128:129], v[128:129], v[96:97], -v[163:164]
	v_fma_f64 v[146:147], v[146:147], v[100:101], v[165:166]
	v_fma_f64 v[130:131], v[130:131], v[96:97], v[167:168]
	v_fma_f64 v[132:133], v[132:133], v[84:85], -v[169:170]
	v_fma_f64 v[136:137], v[136:137], v[80:81], -v[171:172]
	;; [unrolled: 1-line block ×4, first 2 shown]
	v_fma_f64 v[122:123], v[122:123], v[108:109], v[181:182]
	v_fma_f64 v[126:127], v[126:127], v[104:105], v[199:200]
	;; [unrolled: 1-line block ×4, first 2 shown]
	v_add_f64 v[169:170], v[112:113], v[148:149]
	v_add_f64 v[152:153], v[148:149], v[140:141]
	v_add_f64 v[148:149], v[148:149], -v[140:141]
	v_add_f64 v[154:155], v[150:151], v[142:143]
	v_add_f64 v[171:172], v[150:151], -v[142:143]
	v_add_f64 v[150:151], v[114:115], v[150:151]
	v_add_f64 v[173:174], v[76:77], v[144:145]
	;; [unrolled: 1-line block ×11, first 2 shown]
	v_add_f64 v[203:204], v[146:147], -v[130:131]
	v_add_f64 v[163:164], v[134:135], v[138:139]
	v_add_f64 v[209:210], v[122:123], -v[126:127]
	v_add_f64 v[205:206], v[144:145], -v[128:129]
	v_add_f64 v[179:180], v[118:119], v[134:135]
	v_add_f64 v[207:208], v[132:133], -v[136:137]
	v_fma_f64 v[152:153], v[152:153], -0.5, v[112:113]
	v_fma_f64 v[154:155], v[154:155], -0.5, v[114:115]
	v_add_f64 v[112:113], v[173:174], v[128:129]
	v_fma_f64 v[156:157], v[156:157], -0.5, v[76:77]
	v_add_f64 v[76:77], v[150:151], v[142:143]
	v_fma_f64 v[78:79], v[158:159], -0.5, v[78:79]
	v_add_f64 v[158:159], v[134:135], -v[138:139]
	v_fma_f64 v[161:162], v[161:162], -0.5, v[116:117]
	v_add_f64 v[116:117], v[177:178], v[136:137]
	v_fma_f64 v[72:73], v[165:166], -0.5, v[72:73]
	v_add_f64 v[165:166], v[120:121], -v[124:125]
	v_fma_f64 v[167:168], v[167:168], -0.5, v[74:75]
	v_add_f64 v[74:75], v[169:170], v[140:141]
	v_fma_f64 v[163:164], v[163:164], -0.5, v[118:119]
	v_add_f64 v[144:145], v[181:182], v[124:125]
	v_add_f64 v[146:147], v[199:200], v[126:127]
	;; [unrolled: 1-line block ×4, first 2 shown]
	v_fma_f64 v[120:121], v[171:172], s[0:1], v[152:153]
	v_fma_f64 v[124:125], v[171:172], s[12:13], v[152:153]
	;; [unrolled: 1-line block ×16, first 2 shown]
	v_cmp_lt_u16_e64 s0, 2, v189
	v_and_b32_e32 v73, 0xffff, v183
	s_delay_alu instid0(VALU_DEP_2) | instskip(NEXT) | instid1(VALU_DEP_2)
	v_cndmask_b32_e64 v72, 0, 0x5a, s0
	v_mul_u32_u24_e32 v79, 0x5a, v73
	s_delay_alu instid0(VALU_DEP_2) | instskip(NEXT) | instid1(VALU_DEP_2)
	v_add_nc_u32_e32 v78, v160, v72
	v_add_nc_u32_e32 v79, v79, v212
	v_add_co_u32 v72, s0, s10, v211
	s_delay_alu instid0(VALU_DEP_1) | instskip(NEXT) | instid1(VALU_DEP_4)
	v_add_co_ci_u32_e64 v73, null, s11, 0, s0
	v_lshl_add_u32 v200, v78, 4, v191
	s_delay_alu instid0(VALU_DEP_4)
	v_lshl_add_u32 v199, v79, 4, v191
	ds_store_b128 v190, v[74:77]
	ds_store_b128 v190, v[120:123] offset:480
	ds_store_b128 v190, v[124:127] offset:960
	ds_store_b128 v200, v[112:115]
	ds_store_b128 v200, v[128:131] offset:480
	ds_store_b128 v200, v[132:135] offset:960
	;; [unrolled: 3-line block ×3, first 2 shown]
	s_and_saveexec_b32 s0, vcc_lo
	s_cbranch_execz .LBB0_9
; %bb.8:
	v_lshl_add_u32 v74, v193, 4, v191
	ds_store_b128 v74, v[144:147] offset:2880
	ds_store_b128 v74, v[152:155] offset:3360
	;; [unrolled: 1-line block ×3, first 2 shown]
.LBB0_9:
	s_or_b32 exec_lo, exec_lo, s0
	s_waitcnt lgkmcnt(0)
	s_barrier
	buffer_gl0_inv
	ds_load_b128 v[140:143], v190
	ds_load_b128 v[136:139], v190 offset:432
	ds_load_b128 v[172:175], v190 offset:2880
	;; [unrolled: 1-line block ×8, first 2 shown]
	s_and_saveexec_b32 s0, vcc_lo
	s_cbranch_execz .LBB0_11
; %bb.10:
	ds_load_b128 v[144:147], v190 offset:1296
	ds_load_b128 v[152:155], v190 offset:2736
	;; [unrolled: 1-line block ×3, first 2 shown]
.LBB0_11:
	s_or_b32 exec_lo, exec_lo, s0
	v_add_co_u32 v78, s0, v189, -9
	v_lshlrev_b64 v[74:75], 5, v[187:188]
	v_add_co_ci_u32_e64 v79, null, 0, -1, s0
	v_lshlrev_b64 v[76:77], 5, v[185:186]
	s_delay_alu instid0(VALU_DEP_4) | instskip(NEXT) | instid1(VALU_DEP_4)
	v_cndmask_b32_e32 v78, v78, v201, vcc_lo
	v_add_co_u32 v74, s0, s10, v74
	s_delay_alu instid0(VALU_DEP_4)
	v_cndmask_b32_e32 v79, v79, v202, vcc_lo
	v_add_co_ci_u32_e64 v75, s0, s11, v75, s0
	s_clause 0x3
	global_load_b128 v[116:119], v[72:73], off offset:1296
	global_load_b128 v[124:127], v[72:73], off offset:1280
	;; [unrolled: 1-line block ×4, first 2 shown]
	v_lshlrev_b64 v[72:73], 5, v[78:79]
	v_add_co_u32 v74, s0, s10, v76
	s_delay_alu instid0(VALU_DEP_1) | instskip(NEXT) | instid1(VALU_DEP_3)
	v_add_co_ci_u32_e64 v75, s0, s11, v77, s0
	v_add_co_u32 v72, s0, s10, v72
	s_delay_alu instid0(VALU_DEP_1)
	v_add_co_ci_u32_e64 v73, s0, s11, v73, s0
	s_clause 0x3
	global_load_b128 v[132:135], v[74:75], off offset:1280
	global_load_b128 v[128:131], v[74:75], off offset:1296
	;; [unrolled: 1-line block ×4, first 2 shown]
	s_mov_b32 s0, 0xe8584caa
	s_mov_b32 s1, 0x3febb67a
	;; [unrolled: 1-line block ×4, first 2 shown]
	s_waitcnt vmcnt(7) lgkmcnt(6)
	v_mul_f64 v[187:188], v[174:175], v[118:119]
	s_waitcnt vmcnt(6) lgkmcnt(4)
	v_mul_f64 v[185:186], v[182:183], v[126:127]
	v_mul_f64 v[201:202], v[180:181], v[126:127]
	;; [unrolled: 1-line block ×3, first 2 shown]
	s_waitcnt vmcnt(4) lgkmcnt(2)
	v_mul_f64 v[205:206], v[178:179], v[122:123]
	v_mul_f64 v[207:208], v[162:163], v[114:115]
	v_mul_f64 v[209:210], v[176:177], v[122:123]
	v_mul_f64 v[211:212], v[160:161], v[114:115]
	s_waitcnt vmcnt(3) lgkmcnt(1)
	v_mul_f64 v[213:214], v[166:167], v[134:135]
	s_waitcnt vmcnt(2) lgkmcnt(0)
	v_mul_f64 v[215:216], v[170:171], v[130:131]
	s_waitcnt vmcnt(1)
	v_mul_f64 v[221:222], v[154:155], v[78:79]
	s_waitcnt vmcnt(0)
	v_mul_f64 v[223:224], v[158:159], v[74:75]
	v_mul_f64 v[225:226], v[152:153], v[78:79]
	;; [unrolled: 1-line block ×5, first 2 shown]
	v_fma_f64 v[172:173], v[172:173], v[116:117], -v[187:188]
	v_fma_f64 v[180:181], v[180:181], v[124:125], -v[185:186]
	v_fma_f64 v[182:183], v[182:183], v[124:125], v[201:202]
	v_fma_f64 v[174:175], v[174:175], v[116:117], v[203:204]
	v_fma_f64 v[176:177], v[176:177], v[120:121], -v[205:206]
	v_fma_f64 v[185:186], v[160:161], v[112:113], -v[207:208]
	v_fma_f64 v[178:179], v[178:179], v[120:121], v[209:210]
	v_fma_f64 v[187:188], v[162:163], v[112:113], v[211:212]
	v_fma_f64 v[162:163], v[164:165], v[132:133], -v[213:214]
	v_fma_f64 v[168:169], v[168:169], v[128:129], -v[215:216]
	;; [unrolled: 1-line block ×4, first 2 shown]
	v_fma_f64 v[156:157], v[154:155], v[76:77], v[225:226]
	v_fma_f64 v[154:155], v[158:159], v[72:73], v[227:228]
	;; [unrolled: 1-line block ×4, first 2 shown]
	v_add_f64 v[158:159], v[180:181], v[172:173]
	v_add_f64 v[213:214], v[140:141], v[180:181]
	;; [unrolled: 1-line block ×3, first 2 shown]
	v_add_f64 v[215:216], v[182:183], -v[174:175]
	v_add_f64 v[201:202], v[176:177], v[185:186]
	v_add_f64 v[182:183], v[142:143], v[182:183]
	;; [unrolled: 1-line block ×5, first 2 shown]
	v_add_f64 v[225:226], v[176:177], -v[185:186]
	v_add_f64 v[221:222], v[148:149], v[162:163]
	v_add_f64 v[205:206], v[162:163], v[168:169]
	v_add_f64 v[231:232], v[162:163], -v[168:169]
	v_add_f64 v[209:210], v[160:161], v[152:153]
	v_add_f64 v[239:240], v[160:161], -v[152:153]
	v_add_f64 v[211:212], v[156:157], v[154:155]
	v_add_f64 v[223:224], v[150:151], v[164:165]
	v_add_f64 v[207:208], v[164:165], v[170:171]
	v_add_f64 v[235:236], v[156:157], -v[154:155]
	v_add_f64 v[227:228], v[164:165], -v[170:171]
	v_fma_f64 v[140:141], v[158:159], -0.5, v[140:141]
	v_add_f64 v[158:159], v[180:181], -v[172:173]
	v_fma_f64 v[142:143], v[166:167], -0.5, v[142:143]
	;; [unrolled: 2-line block ×3, first 2 shown]
	v_fma_f64 v[138:139], v[203:204], -0.5, v[138:139]
	v_add_f64 v[162:163], v[217:218], v[185:186]
	v_add_f64 v[164:165], v[219:220], v[187:188]
	v_lshl_add_u32 v185, v189, 4, v191
	v_add_f64 v[166:167], v[221:222], v[168:169]
	v_fma_f64 v[229:230], v[205:206], -0.5, v[148:149]
	v_add_f64 v[148:149], v[213:214], v[172:173]
	v_fma_f64 v[237:238], v[209:210], -0.5, v[144:145]
	v_fma_f64 v[241:242], v[211:212], -0.5, v[146:147]
	v_add_f64 v[168:169], v[223:224], v[170:171]
	v_fma_f64 v[233:234], v[207:208], -0.5, v[150:151]
	v_add_f64 v[150:151], v[182:183], v[174:175]
	v_fma_f64 v[170:171], v[215:216], s[0:1], v[140:141]
	v_fma_f64 v[174:175], v[215:216], s[10:11], v[140:141]
	;; [unrolled: 1-line block ×16, first 2 shown]
	ds_store_b128 v185, v[170:173] offset:1440
	ds_store_b128 v185, v[174:177] offset:2880
	ds_store_b128 v190, v[148:151]
	ds_store_b128 v190, v[162:165] offset:432
	ds_store_b128 v185, v[178:181] offset:1872
	;; [unrolled: 1-line block ×6, first 2 shown]
	s_and_saveexec_b32 s0, vcc_lo
	s_cbranch_execz .LBB0_13
; %bb.12:
	v_add_f64 v[146:147], v[146:147], v[156:157]
	v_add_f64 v[144:145], v[144:145], v[160:161]
	s_delay_alu instid0(VALU_DEP_2) | instskip(NEXT) | instid1(VALU_DEP_2)
	v_add_f64 v[146:147], v[146:147], v[154:155]
	v_add_f64 v[144:145], v[144:145], v[152:153]
	ds_store_b128 v190, v[144:147] offset:1296
	ds_store_b128 v185, v[136:139] offset:2736
	;; [unrolled: 1-line block ×3, first 2 shown]
.LBB0_13:
	s_or_b32 exec_lo, exec_lo, s0
	v_add_co_u32 v148, s0, s8, v198
	s_delay_alu instid0(VALU_DEP_1) | instskip(SKIP_1) | instid1(VALU_DEP_2)
	v_add_co_ci_u32_e64 v149, null, s9, 0, s0
	s_waitcnt lgkmcnt(0)
	v_add_co_u32 v144, s0, 0x1000, v148
	s_delay_alu instid0(VALU_DEP_1)
	v_add_co_ci_u32_e64 v145, s0, 0, v149, s0
	s_barrier
	buffer_gl0_inv
	v_add_co_u32 v186, s0, 0x10e0, v148
	global_load_b128 v[144:147], v[144:145], off offset:224
	v_add_co_ci_u32_e64 v187, s0, 0, v149, s0
	s_clause 0x3
	global_load_b128 v[148:151], v[186:187], off offset:432
	global_load_b128 v[152:155], v[186:187], off offset:864
	;; [unrolled: 1-line block ×4, first 2 shown]
	ds_load_b128 v[164:167], v190
	ds_load_b128 v[168:171], v190 offset:432
	global_load_b128 v[172:175], v[186:187], off offset:3888
	s_mov_b32 s0, 0x134454ff
	s_mov_b32 s1, 0xbfee6f0e
	;; [unrolled: 1-line block ×14, first 2 shown]
	s_waitcnt vmcnt(5) lgkmcnt(1)
	v_mul_f64 v[176:177], v[166:167], v[146:147]
	v_mul_f64 v[146:147], v[164:165], v[146:147]
	s_delay_alu instid0(VALU_DEP_2) | instskip(SKIP_3) | instid1(VALU_DEP_4)
	v_fma_f64 v[164:165], v[164:165], v[144:145], -v[176:177]
	s_waitcnt vmcnt(4) lgkmcnt(0)
	v_mul_f64 v[176:177], v[170:171], v[150:151]
	v_mul_f64 v[150:151], v[168:169], v[150:151]
	v_fma_f64 v[166:167], v[166:167], v[144:145], v[146:147]
	ds_load_b128 v[144:147], v190 offset:864
	v_fma_f64 v[168:169], v[168:169], v[148:149], -v[176:177]
	v_fma_f64 v[170:171], v[170:171], v[148:149], v[150:151]
	ds_load_b128 v[148:151], v190 offset:1728
	s_waitcnt vmcnt(3) lgkmcnt(1)
	v_mul_f64 v[176:177], v[146:147], v[154:155]
	v_mul_f64 v[154:155], v[144:145], v[154:155]
	s_delay_alu instid0(VALU_DEP_2) | instskip(NEXT) | instid1(VALU_DEP_2)
	v_fma_f64 v[144:145], v[144:145], v[152:153], -v[176:177]
	v_fma_f64 v[146:147], v[146:147], v[152:153], v[154:155]
	ds_load_b128 v[152:155], v185 offset:1296
	ds_load_b128 v[176:179], v190 offset:3888
	s_waitcnt vmcnt(2) lgkmcnt(1)
	v_mul_f64 v[180:181], v[154:155], v[158:159]
	v_mul_f64 v[158:159], v[152:153], v[158:159]
	s_delay_alu instid0(VALU_DEP_2) | instskip(NEXT) | instid1(VALU_DEP_2)
	v_fma_f64 v[152:153], v[152:153], v[156:157], -v[180:181]
	v_fma_f64 v[154:155], v[154:155], v[156:157], v[158:159]
	s_waitcnt vmcnt(1)
	v_mul_f64 v[156:157], v[150:151], v[162:163]
	v_mul_f64 v[158:159], v[148:149], v[162:163]
	s_delay_alu instid0(VALU_DEP_2) | instskip(NEXT) | instid1(VALU_DEP_2)
	v_fma_f64 v[148:149], v[148:149], v[160:161], -v[156:157]
	v_fma_f64 v[150:151], v[150:151], v[160:161], v[158:159]
	s_clause 0x1
	global_load_b128 v[156:159], v[186:187], off offset:2160
	global_load_b128 v[160:163], v[186:187], off offset:2592
	ds_load_b128 v[180:183], v190 offset:2160
	ds_load_b128 v[201:204], v190 offset:2592
	s_waitcnt vmcnt(1) lgkmcnt(1)
	v_mul_f64 v[205:206], v[182:183], v[158:159]
	v_mul_f64 v[158:159], v[180:181], v[158:159]
	s_delay_alu instid0(VALU_DEP_2) | instskip(NEXT) | instid1(VALU_DEP_2)
	v_fma_f64 v[180:181], v[180:181], v[156:157], -v[205:206]
	v_fma_f64 v[182:183], v[182:183], v[156:157], v[158:159]
	s_waitcnt vmcnt(0) lgkmcnt(0)
	v_mul_f64 v[156:157], v[203:204], v[162:163]
	v_mul_f64 v[158:159], v[201:202], v[162:163]
	s_delay_alu instid0(VALU_DEP_2) | instskip(NEXT) | instid1(VALU_DEP_2)
	v_fma_f64 v[156:157], v[201:202], v[160:161], -v[156:157]
	v_fma_f64 v[158:159], v[203:204], v[160:161], v[158:159]
	s_clause 0x1
	global_load_b128 v[160:163], v[186:187], off offset:3024
	global_load_b128 v[201:204], v[186:187], off offset:3456
	ds_load_b128 v[205:208], v190 offset:3024
	ds_load_b128 v[209:212], v190 offset:3456
	s_waitcnt vmcnt(1) lgkmcnt(1)
	v_mul_f64 v[186:187], v[207:208], v[162:163]
	v_mul_f64 v[162:163], v[205:206], v[162:163]
	s_delay_alu instid0(VALU_DEP_2) | instskip(NEXT) | instid1(VALU_DEP_2)
	v_fma_f64 v[205:206], v[205:206], v[160:161], -v[186:187]
	v_fma_f64 v[207:208], v[207:208], v[160:161], v[162:163]
	s_waitcnt vmcnt(0) lgkmcnt(0)
	v_mul_f64 v[160:161], v[211:212], v[203:204]
	v_mul_f64 v[162:163], v[209:210], v[203:204]
	;; [unrolled: 1-line block ×3, first 2 shown]
	s_delay_alu instid0(VALU_DEP_3) | instskip(NEXT) | instid1(VALU_DEP_3)
	v_fma_f64 v[160:161], v[209:210], v[201:202], -v[160:161]
	v_fma_f64 v[162:163], v[211:212], v[201:202], v[162:163]
	v_mul_f64 v[201:202], v[176:177], v[174:175]
	s_delay_alu instid0(VALU_DEP_4) | instskip(NEXT) | instid1(VALU_DEP_2)
	v_fma_f64 v[174:175], v[176:177], v[172:173], -v[186:187]
	v_fma_f64 v[176:177], v[178:179], v[172:173], v[201:202]
	ds_store_b128 v190, v[164:167]
	ds_store_b128 v190, v[168:171] offset:432
	ds_store_b128 v190, v[144:147] offset:864
	;; [unrolled: 1-line block ×9, first 2 shown]
	s_waitcnt lgkmcnt(0)
	s_barrier
	buffer_gl0_inv
	ds_load_b128 v[144:147], v190
	ds_load_b128 v[148:151], v190 offset:864
	ds_load_b128 v[152:155], v190 offset:1728
	;; [unrolled: 1-line block ×5, first 2 shown]
	s_waitcnt lgkmcnt(4)
	v_add_f64 v[168:169], v[144:145], v[148:149]
	v_add_f64 v[170:171], v[146:147], v[150:151]
	s_waitcnt lgkmcnt(1)
	v_add_f64 v[172:173], v[148:149], v[160:161]
	v_add_f64 v[174:175], v[150:151], v[162:163]
	v_add_f64 v[180:181], v[150:151], -v[162:163]
	v_add_f64 v[182:183], v[148:149], -v[160:161]
	;; [unrolled: 1-line block ×6, first 2 shown]
	v_add_f64 v[203:204], v[168:169], v[152:153]
	v_add_f64 v[205:206], v[170:171], v[154:155]
	ds_load_b128 v[148:151], v190 offset:2592
	ds_load_b128 v[168:171], v190 offset:2160
	s_waitcnt lgkmcnt(1)
	v_add_f64 v[207:208], v[152:153], v[148:149]
	v_add_f64 v[209:210], v[154:155], v[150:151]
	v_add_f64 v[211:212], v[154:155], -v[150:151]
	v_add_f64 v[213:214], v[152:153], -v[148:149]
	;; [unrolled: 1-line block ×4, first 2 shown]
	s_waitcnt lgkmcnt(0)
	v_add_f64 v[239:240], v[168:169], -v[164:165]
	v_add_f64 v[241:242], v[170:171], -v[166:167]
	v_add_f64 v[152:153], v[203:204], v[148:149]
	v_add_f64 v[154:155], v[205:206], v[150:151]
	v_add_f64 v[203:204], v[160:161], -v[148:149]
	v_add_f64 v[205:206], v[148:149], -v[160:161]
	v_fma_f64 v[207:208], v[207:208], -0.5, v[144:145]
	v_fma_f64 v[209:210], v[209:210], -0.5, v[146:147]
	;; [unrolled: 1-line block ×4, first 2 shown]
	v_add_f64 v[186:187], v[186:187], v[215:216]
	v_add_f64 v[160:161], v[152:153], v[160:161]
	;; [unrolled: 1-line block ×3, first 2 shown]
	ds_load_b128 v[148:151], v185 offset:1296
	ds_load_b128 v[152:155], v190 offset:3888
	v_add_f64 v[203:204], v[176:177], v[203:204]
	v_add_f64 v[176:177], v[178:179], v[205:206]
	;; [unrolled: 1-line block ×3, first 2 shown]
	s_waitcnt lgkmcnt(0)
	s_barrier
	buffer_gl0_inv
	v_add_f64 v[219:220], v[156:157], v[148:149]
	v_add_f64 v[221:222], v[158:159], v[150:151]
	;; [unrolled: 1-line block ×3, first 2 shown]
	v_add_f64 v[227:228], v[148:149], -v[152:153]
	v_add_f64 v[231:232], v[148:149], -v[168:169]
	;; [unrolled: 1-line block ×3, first 2 shown]
	v_add_f64 v[223:224], v[150:151], v[154:155]
	v_add_f64 v[229:230], v[150:151], -v[154:155]
	v_add_f64 v[233:234], v[150:151], -v[170:171]
	;; [unrolled: 1-line block ×3, first 2 shown]
	v_add_f64 v[148:149], v[219:220], v[168:169]
	v_add_f64 v[219:220], v[170:171], v[166:167]
	;; [unrolled: 1-line block ×4, first 2 shown]
	v_add_f64 v[170:171], v[154:155], -v[166:167]
	v_fma_f64 v[225:226], v[225:226], -0.5, v[156:157]
	v_add_f64 v[168:169], v[152:153], -v[164:165]
	v_fma_f64 v[223:224], v[223:224], -0.5, v[158:159]
	v_add_f64 v[148:149], v[148:149], v[164:165]
	v_fma_f64 v[219:220], v[219:220], -0.5, v[158:159]
	v_add_f64 v[164:165], v[164:165], -v[152:153]
	v_fma_f64 v[221:222], v[221:222], -0.5, v[156:157]
	v_add_f64 v[233:234], v[233:234], v[170:171]
	v_add_f64 v[150:151], v[150:151], v[166:167]
	;; [unrolled: 1-line block ×3, first 2 shown]
	v_add_f64 v[166:167], v[166:167], -v[154:155]
	v_add_f64 v[152:153], v[148:149], v[152:153]
	v_fma_f64 v[156:157], v[227:228], s[8:9], v[219:220]
	v_add_f64 v[174:175], v[237:238], v[164:165]
	v_fma_f64 v[158:159], v[229:230], s[0:1], v[221:222]
	v_fma_f64 v[164:165], v[239:240], s[0:1], v[223:224]
	v_add_f64 v[154:155], v[150:151], v[154:155]
	v_add_f64 v[172:173], v[235:236], v[166:167]
	v_fma_f64 v[166:167], v[241:242], s[8:9], v[225:226]
	v_add_f64 v[148:149], v[160:161], v[152:153]
	v_fma_f64 v[156:157], v[239:240], s[12:13], v[156:157]
	v_add_f64 v[152:153], v[160:161], -v[152:153]
	v_fma_f64 v[158:159], v[241:242], s[10:11], v[158:159]
	v_fma_f64 v[164:165], v[227:228], s[12:13], v[164:165]
	v_add_f64 v[150:151], v[162:163], v[154:155]
	v_add_f64 v[154:155], v[162:163], -v[154:155]
	v_fma_f64 v[166:167], v[229:230], s[10:11], v[166:167]
	v_fma_f64 v[156:157], v[233:234], s[14:15], v[156:157]
	;; [unrolled: 1-line block ×4, first 2 shown]
	s_delay_alu instid0(VALU_DEP_4) | instskip(NEXT) | instid1(VALU_DEP_4)
	v_fma_f64 v[166:167], v[174:175], s[14:15], v[166:167]
	v_mul_f64 v[160:161], v[156:157], s[10:11]
	s_delay_alu instid0(VALU_DEP_1) | instskip(SKIP_1) | instid1(VALU_DEP_1)
	v_fma_f64 v[160:161], v[158:159], s[16:17], v[160:161]
	v_mul_f64 v[158:159], v[158:159], s[12:13]
	v_fma_f64 v[162:163], v[156:157], s[16:17], v[158:159]
	v_fma_f64 v[156:157], v[180:181], s[0:1], v[207:208]
	;; [unrolled: 1-line block ×3, first 2 shown]
	s_mov_b32 s17, 0xbfe9e377
	s_delay_alu instid0(VALU_DEP_2) | instskip(NEXT) | instid1(VALU_DEP_2)
	v_fma_f64 v[156:157], v[211:212], s[10:11], v[156:157]
	v_fma_f64 v[158:159], v[213:214], s[12:13], v[158:159]
	s_delay_alu instid0(VALU_DEP_2) | instskip(NEXT) | instid1(VALU_DEP_2)
	v_fma_f64 v[168:169], v[203:204], s[14:15], v[156:157]
	v_fma_f64 v[170:171], v[186:187], s[14:15], v[158:159]
	s_delay_alu instid0(VALU_DEP_2)
	v_add_f64 v[156:157], v[168:169], v[160:161]
	v_add_f64 v[160:161], v[168:169], -v[160:161]
	v_mul_f64 v[168:169], v[164:165], s[0:1]
	v_mul_f64 v[164:165], v[164:165], s[14:15]
	v_add_f64 v[158:159], v[170:171], v[162:163]
	v_add_f64 v[162:163], v[170:171], -v[162:163]
	s_delay_alu instid0(VALU_DEP_4) | instskip(NEXT) | instid1(VALU_DEP_4)
	v_fma_f64 v[168:169], v[166:167], s[14:15], v[168:169]
	v_fma_f64 v[170:171], v[166:167], s[8:9], v[164:165]
	;; [unrolled: 1-line block ×6, first 2 shown]
	s_delay_alu instid0(VALU_DEP_4) | instskip(NEXT) | instid1(VALU_DEP_4)
	v_fma_f64 v[164:165], v[180:181], s[10:11], v[164:165]
	v_fma_f64 v[144:145], v[180:181], s[12:13], v[144:145]
	s_delay_alu instid0(VALU_DEP_4) | instskip(NEXT) | instid1(VALU_DEP_4)
	v_fma_f64 v[166:167], v[182:183], s[12:13], v[166:167]
	v_fma_f64 v[146:147], v[182:183], s[10:11], v[146:147]
	;; [unrolled: 1-line block ×10, first 2 shown]
	v_add_f64 v[164:165], v[201:202], v[168:169]
	v_add_f64 v[168:169], v[201:202], -v[168:169]
	v_fma_f64 v[201:202], v[239:240], s[8:9], v[223:224]
	v_add_f64 v[166:167], v[205:206], v[170:171]
	v_add_f64 v[170:171], v[205:206], -v[170:171]
	v_fma_f64 v[186:187], v[186:187], s[14:15], v[182:183]
	s_delay_alu instid0(VALU_DEP_4) | instskip(NEXT) | instid1(VALU_DEP_1)
	v_fma_f64 v[201:202], v[227:228], s[10:11], v[201:202]
	v_fma_f64 v[172:173], v[172:173], s[14:15], v[201:202]
	;; [unrolled: 1-line block ×3, first 2 shown]
	s_delay_alu instid0(VALU_DEP_2) | instskip(NEXT) | instid1(VALU_DEP_2)
	v_mul_f64 v[176:177], v[172:173], s[0:1]
	v_fma_f64 v[201:202], v[229:230], s[12:13], v[201:202]
	v_mul_f64 v[172:173], v[172:173], s[18:19]
	s_delay_alu instid0(VALU_DEP_2) | instskip(SKIP_1) | instid1(VALU_DEP_2)
	v_fma_f64 v[174:175], v[174:175], s[14:15], v[201:202]
	v_fma_f64 v[201:202], v[203:204], s[14:15], v[180:181]
	;; [unrolled: 1-line block ×3, first 2 shown]
	s_delay_alu instid0(VALU_DEP_4) | instskip(NEXT) | instid1(VALU_DEP_2)
	v_fma_f64 v[178:179], v[174:175], s[8:9], v[172:173]
	v_add_f64 v[172:173], v[144:145], v[176:177]
	v_add_f64 v[176:177], v[144:145], -v[176:177]
	v_fma_f64 v[144:145], v[227:228], s[0:1], v[219:220]
	s_delay_alu instid0(VALU_DEP_4) | instskip(SKIP_2) | instid1(VALU_DEP_4)
	v_add_f64 v[174:175], v[146:147], v[178:179]
	v_add_f64 v[178:179], v[146:147], -v[178:179]
	v_fma_f64 v[146:147], v[229:230], s[8:9], v[221:222]
	v_fma_f64 v[144:145], v[239:240], s[10:11], v[144:145]
	s_delay_alu instid0(VALU_DEP_2) | instskip(NEXT) | instid1(VALU_DEP_2)
	v_fma_f64 v[146:147], v[241:242], s[12:13], v[146:147]
	v_fma_f64 v[144:145], v[233:234], s[14:15], v[144:145]
	s_delay_alu instid0(VALU_DEP_2) | instskip(NEXT) | instid1(VALU_DEP_2)
	v_fma_f64 v[146:147], v[231:232], s[14:15], v[146:147]
	v_mul_f64 v[180:181], v[144:145], s[10:11]
	v_mul_f64 v[144:145], v[144:145], s[16:17]
	s_delay_alu instid0(VALU_DEP_2) | instskip(NEXT) | instid1(VALU_DEP_2)
	v_fma_f64 v[203:204], v[146:147], s[16:17], v[180:181]
	v_fma_f64 v[146:147], v[146:147], s[12:13], v[144:145]
	s_delay_alu instid0(VALU_DEP_2) | instskip(NEXT) | instid1(VALU_DEP_2)
	v_add_f64 v[180:181], v[201:202], v[203:204]
	v_add_f64 v[182:183], v[186:187], v[146:147]
	v_add_f64 v[144:145], v[201:202], -v[203:204]
	v_add_f64 v[146:147], v[186:187], -v[146:147]
	ds_store_b128 v192, v[148:151]
	ds_store_b128 v192, v[156:159] offset:16
	ds_store_b128 v192, v[164:167] offset:32
	;; [unrolled: 1-line block ×9, first 2 shown]
	s_waitcnt lgkmcnt(0)
	s_barrier
	buffer_gl0_inv
	ds_load_b128 v[152:155], v190
	ds_load_b128 v[148:151], v190 offset:432
	ds_load_b128 v[172:175], v190 offset:2880
	;; [unrolled: 1-line block ×8, first 2 shown]
	s_and_saveexec_b32 s0, vcc_lo
	s_cbranch_execz .LBB0_15
; %bb.14:
	ds_load_b128 v[144:147], v185 offset:1296
	ds_load_b128 v[136:139], v190 offset:2736
	;; [unrolled: 1-line block ×3, first 2 shown]
.LBB0_15:
	s_or_b32 exec_lo, exec_lo, s0
	s_waitcnt lgkmcnt(4)
	v_mul_f64 v[186:187], v[54:55], v[182:183]
	v_mul_f64 v[201:202], v[50:51], v[174:175]
	;; [unrolled: 1-line block ×4, first 2 shown]
	s_waitcnt lgkmcnt(2)
	v_mul_f64 v[203:204], v[62:63], v[178:179]
	v_mul_f64 v[205:206], v[58:59], v[162:163]
	;; [unrolled: 1-line block ×4, first 2 shown]
	s_waitcnt lgkmcnt(1)
	v_mul_f64 v[207:208], v[46:47], v[166:167]
	s_waitcnt lgkmcnt(0)
	v_mul_f64 v[209:210], v[42:43], v[170:171]
	v_mul_f64 v[46:47], v[46:47], v[164:165]
	;; [unrolled: 1-line block ×7, first 2 shown]
	s_mov_b32 s0, 0xe8584caa
	s_mov_b32 s1, 0xbfebb67a
	;; [unrolled: 1-line block ×4, first 2 shown]
	s_barrier
	buffer_gl0_inv
	v_fma_f64 v[180:181], v[52:53], v[180:181], v[186:187]
	v_fma_f64 v[172:173], v[48:49], v[172:173], v[201:202]
	v_fma_f64 v[52:53], v[52:53], v[182:183], -v[54:55]
	v_fma_f64 v[48:49], v[48:49], v[174:175], -v[50:51]
	v_fma_f64 v[50:51], v[60:61], v[176:177], v[203:204]
	v_fma_f64 v[54:55], v[56:57], v[160:161], v[205:206]
	v_fma_f64 v[60:61], v[60:61], v[178:179], -v[62:63]
	v_fma_f64 v[56:57], v[56:57], v[162:163], -v[58:59]
	;; [unrolled: 4-line block ×4, first 2 shown]
	v_add_f64 v[164:165], v[152:153], v[180:181]
	v_add_f64 v[66:67], v[180:181], v[172:173]
	;; [unrolled: 1-line block ×3, first 2 shown]
	v_add_f64 v[166:167], v[52:53], -v[48:49]
	v_add_f64 v[70:71], v[50:51], v[54:55]
	v_add_f64 v[52:53], v[154:155], v[52:53]
	v_add_f64 v[138:139], v[60:61], v[56:57]
	v_add_f64 v[168:169], v[148:149], v[50:51]
	v_add_f64 v[140:141], v[58:59], v[62:63]
	v_add_f64 v[170:171], v[150:151], v[60:61]
	v_add_f64 v[142:143], v[44:45], v[40:41]
	v_add_f64 v[174:175], v[156:157], v[58:59]
	v_add_f64 v[160:161], v[42:43], v[136:137]
	v_add_f64 v[176:177], v[158:159], v[44:45]
	v_add_f64 v[162:163], v[46:47], v[64:65]
	v_add_f64 v[178:179], v[144:145], v[42:43]
	v_add_f64 v[182:183], v[146:147], v[46:47]
	v_add_f64 v[60:61], v[60:61], -v[56:57]
	v_add_f64 v[58:59], v[58:59], -v[62:63]
	v_add_f64 v[201:202], v[46:47], -v[64:65]
	v_add_f64 v[203:204], v[42:43], -v[136:137]
	v_add_f64 v[186:187], v[44:45], -v[40:41]
	v_add_f64 v[44:45], v[164:165], v[172:173]
	v_fma_f64 v[66:67], v[66:67], -0.5, v[152:153]
	v_add_f64 v[152:153], v[180:181], -v[172:173]
	v_add_f64 v[180:181], v[50:51], -v[54:55]
	v_fma_f64 v[154:155], v[68:69], -0.5, v[154:155]
	v_fma_f64 v[148:149], v[70:71], -0.5, v[148:149]
	v_add_f64 v[46:47], v[52:53], v[48:49]
	v_fma_f64 v[150:151], v[138:139], -0.5, v[150:151]
	v_add_f64 v[48:49], v[168:169], v[54:55]
	;; [unrolled: 2-line block ×6, first 2 shown]
	v_add_f64 v[42:43], v[182:183], v[64:65]
	v_fma_f64 v[64:65], v[166:167], s[0:1], v[66:67]
	v_fma_f64 v[68:69], v[166:167], s[8:9], v[66:67]
	;; [unrolled: 1-line block ×16, first 2 shown]
	ds_store_b128 v197, v[44:47]
	ds_store_b128 v197, v[64:67] offset:160
	ds_store_b128 v197, v[68:71] offset:320
	ds_store_b128 v195, v[48:51]
	ds_store_b128 v195, v[136:139] offset:160
	ds_store_b128 v195, v[140:143] offset:320
	;; [unrolled: 3-line block ×3, first 2 shown]
	s_and_saveexec_b32 s0, vcc_lo
	s_cbranch_execz .LBB0_17
; %bb.16:
	v_lshl_add_u32 v44, v196, 4, v191
	ds_store_b128 v44, v[40:43] offset:3840
	ds_store_b128 v44, v[56:59] offset:4000
	;; [unrolled: 1-line block ×3, first 2 shown]
.LBB0_17:
	s_or_b32 exec_lo, exec_lo, s0
	s_waitcnt lgkmcnt(0)
	s_barrier
	buffer_gl0_inv
	ds_load_b128 v[48:51], v190
	ds_load_b128 v[44:47], v190 offset:432
	ds_load_b128 v[140:143], v190 offset:2880
	;; [unrolled: 1-line block ×8, first 2 shown]
	s_and_saveexec_b32 s0, vcc_lo
	s_cbranch_execz .LBB0_19
; %bb.18:
	ds_load_b128 v[40:43], v185 offset:1296
	ds_load_b128 v[56:59], v190 offset:2736
	;; [unrolled: 1-line block ×3, first 2 shown]
.LBB0_19:
	s_or_b32 exec_lo, exec_lo, s0
	s_waitcnt lgkmcnt(4)
	v_mul_f64 v[152:153], v[94:95], v[150:151]
	v_mul_f64 v[154:155], v[90:91], v[142:143]
	;; [unrolled: 1-line block ×4, first 2 shown]
	s_waitcnt lgkmcnt(2)
	v_mul_f64 v[156:157], v[102:103], v[146:147]
	v_mul_f64 v[158:159], v[98:99], v[66:67]
	;; [unrolled: 1-line block ×4, first 2 shown]
	s_waitcnt lgkmcnt(1)
	v_mul_f64 v[160:161], v[86:87], v[70:71]
	s_waitcnt lgkmcnt(0)
	v_mul_f64 v[162:163], v[82:83], v[138:139]
	v_mul_f64 v[86:87], v[86:87], v[68:69]
	;; [unrolled: 1-line block ×7, first 2 shown]
	s_mov_b32 s0, 0xe8584caa
	s_mov_b32 s1, 0xbfebb67a
	;; [unrolled: 1-line block ×3, first 2 shown]
	s_barrier
	buffer_gl0_inv
	v_fma_f64 v[148:149], v[92:93], v[148:149], v[152:153]
	v_fma_f64 v[140:141], v[88:89], v[140:141], v[154:155]
	v_fma_f64 v[92:93], v[92:93], v[150:151], -v[94:95]
	v_fma_f64 v[88:89], v[88:89], v[142:143], -v[90:91]
	v_fma_f64 v[90:91], v[100:101], v[144:145], v[156:157]
	v_fma_f64 v[64:65], v[96:97], v[64:65], v[158:159]
	v_fma_f64 v[94:95], v[100:101], v[146:147], -v[102:103]
	v_fma_f64 v[66:67], v[96:97], v[66:67], -v[98:99]
	v_fma_f64 v[68:69], v[84:85], v[68:69], v[160:161]
	v_fma_f64 v[96:97], v[80:81], v[136:137], v[162:163]
	v_fma_f64 v[70:71], v[84:85], v[70:71], -v[86:87]
	v_fma_f64 v[80:81], v[80:81], v[138:139], -v[82:83]
	v_fma_f64 v[56:57], v[108:109], v[56:57], v[164:165]
	v_fma_f64 v[82:83], v[104:105], v[60:61], v[166:167]
	v_fma_f64 v[58:59], v[108:109], v[58:59], -v[110:111]
	v_fma_f64 v[84:85], v[104:105], v[62:63], -v[106:107]
	v_add_f64 v[108:109], v[48:49], v[148:149]
	v_add_f64 v[60:61], v[148:149], v[140:141]
	v_add_f64 v[148:149], v[148:149], -v[140:141]
	v_add_f64 v[62:63], v[92:93], v[88:89]
	v_add_f64 v[110:111], v[92:93], -v[88:89]
	v_add_f64 v[86:87], v[90:91], v[64:65]
	v_add_f64 v[92:93], v[50:51], v[92:93]
	;; [unrolled: 1-line block ×12, first 2 shown]
	v_add_f64 v[94:95], v[94:95], -v[66:67]
	v_add_f64 v[152:153], v[58:59], -v[84:85]
	;; [unrolled: 1-line block ×3, first 2 shown]
	v_add_f64 v[142:143], v[52:53], v[68:69]
	v_fma_f64 v[48:49], v[60:61], -0.5, v[48:49]
	v_fma_f64 v[50:51], v[62:63], -0.5, v[50:51]
	;; [unrolled: 1-line block ×3, first 2 shown]
	v_add_f64 v[86:87], v[90:91], -v[64:65]
	v_fma_f64 v[46:47], v[98:99], -0.5, v[46:47]
	v_add_f64 v[90:91], v[70:71], -v[80:81]
	v_fma_f64 v[98:99], v[100:101], -0.5, v[52:53]
	;; [unrolled: 2-line block ×3, first 2 shown]
	v_add_f64 v[52:53], v[108:109], v[140:141]
	v_fma_f64 v[104:105], v[104:105], -0.5, v[40:41]
	v_add_f64 v[54:55], v[92:93], v[88:89]
	v_fma_f64 v[106:107], v[106:107], -0.5, v[42:43]
	v_add_f64 v[56:57], v[136:137], v[64:65]
	v_add_f64 v[58:59], v[138:139], v[66:67]
	;; [unrolled: 1-line block ×6, first 2 shown]
	v_fma_f64 v[64:65], v[110:111], s[0:1], v[48:49]
	v_fma_f64 v[68:69], v[110:111], s[8:9], v[48:49]
	;; [unrolled: 1-line block ×16, first 2 shown]
	ds_store_b128 v190, v[52:55]
	ds_store_b128 v190, v[64:67] offset:480
	ds_store_b128 v190, v[68:71] offset:960
	ds_store_b128 v200, v[56:59]
	ds_store_b128 v200, v[80:83] offset:480
	ds_store_b128 v200, v[84:87] offset:960
	;; [unrolled: 3-line block ×3, first 2 shown]
	s_and_saveexec_b32 s0, vcc_lo
	s_cbranch_execz .LBB0_21
; %bb.20:
	v_lshl_add_u32 v52, v193, 4, v191
	ds_store_b128 v52, v[40:43] offset:2880
	ds_store_b128 v52, v[44:47] offset:3360
	ds_store_b128 v52, v[48:51] offset:3840
.LBB0_21:
	s_or_b32 exec_lo, exec_lo, s0
	s_waitcnt lgkmcnt(0)
	s_barrier
	buffer_gl0_inv
	ds_load_b128 v[60:63], v190
	ds_load_b128 v[52:55], v190 offset:432
	ds_load_b128 v[84:87], v190 offset:2880
	;; [unrolled: 1-line block ×8, first 2 shown]
	v_add_nc_u32_e32 v96, 0x360, v190
	s_and_saveexec_b32 s0, vcc_lo
	s_cbranch_execz .LBB0_23
; %bb.22:
	ds_load_b128 v[40:43], v185 offset:1296
	ds_load_b128 v[44:47], v190 offset:2736
	;; [unrolled: 1-line block ×3, first 2 shown]
.LBB0_23:
	s_or_b32 exec_lo, exec_lo, s0
	s_waitcnt lgkmcnt(4)
	v_mul_f64 v[97:98], v[126:127], v[94:95]
	v_mul_f64 v[99:100], v[118:119], v[86:87]
	;; [unrolled: 1-line block ×4, first 2 shown]
	s_waitcnt lgkmcnt(2)
	v_mul_f64 v[105:106], v[122:123], v[90:91]
	v_mul_f64 v[107:108], v[114:115], v[66:67]
	;; [unrolled: 1-line block ×4, first 2 shown]
	s_waitcnt lgkmcnt(1)
	v_mul_f64 v[118:119], v[134:135], v[70:71]
	s_waitcnt lgkmcnt(0)
	v_mul_f64 v[122:123], v[130:131], v[82:83]
	v_mul_f64 v[126:127], v[134:135], v[68:69]
	;; [unrolled: 1-line block ×3, first 2 shown]
	s_mov_b32 s0, 0xe8584caa
	s_mov_b32 s1, 0xbfebb67a
	;; [unrolled: 1-line block ×3, first 2 shown]
	v_fma_f64 v[92:93], v[124:125], v[92:93], v[97:98]
	v_fma_f64 v[84:85], v[116:117], v[84:85], v[99:100]
	v_fma_f64 v[94:95], v[124:125], v[94:95], -v[101:102]
	v_fma_f64 v[86:87], v[116:117], v[86:87], -v[103:104]
	v_fma_f64 v[88:89], v[120:121], v[88:89], v[105:106]
	v_fma_f64 v[64:65], v[112:113], v[64:65], v[107:108]
	v_fma_f64 v[90:91], v[120:121], v[90:91], -v[109:110]
	v_fma_f64 v[66:67], v[112:113], v[66:67], -v[114:115]
	;; [unrolled: 4-line block ×3, first 2 shown]
	v_add_f64 v[109:110], v[60:61], v[92:93]
	v_add_f64 v[97:98], v[92:93], v[84:85]
	v_add_f64 v[92:93], v[92:93], -v[84:85]
	v_add_f64 v[99:100], v[94:95], v[86:87]
	v_add_f64 v[111:112], v[94:95], -v[86:87]
	v_add_f64 v[101:102], v[88:89], v[64:65]
	v_add_f64 v[94:95], v[62:63], v[94:95]
	;; [unrolled: 1-line block ×9, first 2 shown]
	v_add_f64 v[90:91], v[90:91], -v[66:67]
	v_add_f64 v[88:89], v[88:89], -v[64:65]
	;; [unrolled: 1-line block ×4, first 2 shown]
	v_fma_f64 v[97:98], v[97:98], -0.5, v[60:61]
	v_fma_f64 v[99:100], v[99:100], -0.5, v[62:63]
	;; [unrolled: 1-line block ×3, first 2 shown]
	v_add_f64 v[52:53], v[109:110], v[84:85]
	v_fma_f64 v[103:104], v[103:104], -0.5, v[54:55]
	v_add_f64 v[54:55], v[94:95], v[86:87]
	v_fma_f64 v[105:106], v[105:106], -0.5, v[56:57]
	;; [unrolled: 2-line block ×3, first 2 shown]
	v_add_f64 v[58:59], v[115:116], v[66:67]
	v_add_f64 v[60:61], v[117:118], v[80:81]
	;; [unrolled: 1-line block ×3, first 2 shown]
	v_fma_f64 v[64:65], v[111:112], s[0:1], v[97:98]
	v_fma_f64 v[68:69], v[111:112], s[8:9], v[97:98]
	;; [unrolled: 1-line block ×12, first 2 shown]
	ds_store_b128 v190, v[52:55]
	ds_store_b128 v185, v[64:67] offset:1440
	ds_store_b128 v185, v[68:71] offset:2880
	;; [unrolled: 1-line block ×8, first 2 shown]
	s_and_saveexec_b32 s10, vcc_lo
	s_cbranch_execz .LBB0_25
; %bb.24:
	v_mul_f64 v[52:53], v[78:79], v[44:45]
	v_mul_f64 v[54:55], v[74:75], v[48:49]
	v_mul_f64 v[56:57], v[78:79], v[46:47]
	v_mul_f64 v[58:59], v[74:75], v[50:51]
	s_delay_alu instid0(VALU_DEP_4) | instskip(NEXT) | instid1(VALU_DEP_4)
	v_fma_f64 v[46:47], v[76:77], v[46:47], -v[52:53]
	v_fma_f64 v[50:51], v[72:73], v[50:51], -v[54:55]
	s_delay_alu instid0(VALU_DEP_4) | instskip(NEXT) | instid1(VALU_DEP_4)
	v_fma_f64 v[44:45], v[76:77], v[44:45], v[56:57]
	v_fma_f64 v[48:49], v[72:73], v[48:49], v[58:59]
	s_delay_alu instid0(VALU_DEP_4) | instskip(NEXT) | instid1(VALU_DEP_4)
	v_add_f64 v[58:59], v[42:43], v[46:47]
	v_add_f64 v[52:53], v[46:47], v[50:51]
	v_add_f64 v[60:61], v[46:47], -v[50:51]
	s_delay_alu instid0(VALU_DEP_4)
	v_add_f64 v[54:55], v[44:45], v[48:49]
	v_add_f64 v[56:57], v[44:45], -v[48:49]
	v_add_f64 v[44:45], v[40:41], v[44:45]
	v_fma_f64 v[52:53], v[52:53], -0.5, v[42:43]
	v_add_f64 v[42:43], v[58:59], v[50:51]
	v_fma_f64 v[54:55], v[54:55], -0.5, v[40:41]
	s_delay_alu instid0(VALU_DEP_4) | instskip(NEXT) | instid1(VALU_DEP_4)
	v_add_f64 v[40:41], v[44:45], v[48:49]
	v_fma_f64 v[50:51], v[56:57], s[8:9], v[52:53]
	v_fma_f64 v[46:47], v[56:57], s[0:1], v[52:53]
	s_delay_alu instid0(VALU_DEP_4)
	v_fma_f64 v[48:49], v[60:61], s[0:1], v[54:55]
	v_fma_f64 v[44:45], v[60:61], s[8:9], v[54:55]
	ds_store_b128 v185, v[40:43] offset:1296
	ds_store_b128 v185, v[48:51] offset:2736
	;; [unrolled: 1-line block ×3, first 2 shown]
.LBB0_25:
	s_or_b32 exec_lo, exec_lo, s10
	s_waitcnt lgkmcnt(0)
	s_barrier
	buffer_gl0_inv
	ds_load_b128 v[40:43], v190
	ds_load_b128 v[44:47], v190 offset:432
	ds_load_b128 v[48:51], v190 offset:864
	;; [unrolled: 1-line block ×9, first 2 shown]
	v_mad_u64_u32 v[80:81], null, s6, v184, 0
	v_mad_u64_u32 v[82:83], null, s4, v189, 0
	s_mul_i32 s0, s5, 0x1b0
	s_mul_hi_u32 s1, s4, 0x1b0
	s_delay_alu instid0(VALU_DEP_1)
	v_mad_u64_u32 v[104:105], null, s7, v184, v[81:82]
	s_waitcnt lgkmcnt(9)
	v_mul_f64 v[84:85], v[2:3], v[42:43]
	v_mul_f64 v[2:3], v[2:3], v[40:41]
	s_waitcnt lgkmcnt(8)
	v_mul_f64 v[86:87], v[6:7], v[46:47]
	v_mul_f64 v[6:7], v[6:7], v[44:45]
	;; [unrolled: 3-line block ×10, first 2 shown]
	v_mov_b32_e32 v81, v104
	s_delay_alu instid0(VALU_DEP_1)
	v_lshlrev_b64 v[80:81], 4, v[80:81]
	v_fma_f64 v[40:41], v[0:1], v[40:41], v[84:85]
	v_fma_f64 v[2:3], v[0:1], v[42:43], -v[2:3]
	v_fma_f64 v[42:43], v[4:5], v[44:45], v[86:87]
	v_fma_f64 v[6:7], v[4:5], v[46:47], -v[6:7]
	;; [unrolled: 2-line block ×10, first 2 shown]
	v_mad_u64_u32 v[105:106], null, s5, v189, v[83:84]
	v_add_co_u32 v0, vcc_lo, s2, v80
	v_add_co_ci_u32_e32 v1, vcc_lo, s3, v81, vcc_lo
	s_add_i32 s3, s1, s0
	s_mov_b32 s0, 0xc901e574
	s_delay_alu instid0(VALU_DEP_3) | instskip(SKIP_2) | instid1(VALU_DEP_1)
	v_mov_b32_e32 v83, v105
	s_mov_b32 s1, 0x3f6e573a
	s_mul_i32 s2, s4, 0x1b0
	v_lshlrev_b64 v[82:83], 4, v[82:83]
	s_delay_alu instid0(VALU_DEP_1) | instskip(NEXT) | instid1(VALU_DEP_2)
	v_add_co_u32 v60, vcc_lo, v0, v82
	v_add_co_ci_u32_e32 v61, vcc_lo, v1, v83, vcc_lo
	v_mul_f64 v[0:1], v[40:41], s[0:1]
	v_mul_f64 v[2:3], v[2:3], s[0:1]
	v_mul_f64 v[4:5], v[42:43], s[0:1]
	v_mul_f64 v[6:7], v[6:7], s[0:1]
	v_mul_f64 v[8:9], v[44:45], s[0:1]
	v_mul_f64 v[10:11], v[10:11], s[0:1]
	v_add_co_u32 v62, vcc_lo, v60, s2
	v_mul_f64 v[12:13], v[46:47], s[0:1]
	v_mul_f64 v[14:15], v[14:15], s[0:1]
	v_add_co_ci_u32_e32 v63, vcc_lo, s3, v61, vcc_lo
	s_delay_alu instid0(VALU_DEP_4)
	v_add_co_u32 v64, vcc_lo, v62, s2
	v_mul_f64 v[16:17], v[48:49], s[0:1]
	v_mul_f64 v[18:19], v[18:19], s[0:1]
	;; [unrolled: 1-line block ×6, first 2 shown]
	v_add_co_ci_u32_e32 v65, vcc_lo, s3, v63, vcc_lo
	v_mul_f64 v[28:29], v[54:55], s[0:1]
	v_mul_f64 v[30:31], v[30:31], s[0:1]
	;; [unrolled: 1-line block ×6, first 2 shown]
	v_add_co_u32 v40, vcc_lo, v64, s2
	v_add_co_ci_u32_e32 v41, vcc_lo, s3, v65, vcc_lo
	s_clause 0x3
	global_store_b128 v[60:61], v[0:3], off
	global_store_b128 v[62:63], v[4:7], off
	;; [unrolled: 1-line block ×4, first 2 shown]
	v_add_co_u32 v42, vcc_lo, v40, s2
	v_add_co_ci_u32_e32 v43, vcc_lo, s3, v41, vcc_lo
	s_delay_alu instid0(VALU_DEP_2) | instskip(NEXT) | instid1(VALU_DEP_2)
	v_add_co_u32 v44, vcc_lo, v42, s2
	v_add_co_ci_u32_e32 v45, vcc_lo, s3, v43, vcc_lo
	global_store_b128 v[42:43], v[16:19], off
	v_add_co_u32 v46, vcc_lo, v44, s2
	v_add_co_ci_u32_e32 v47, vcc_lo, s3, v45, vcc_lo
	s_delay_alu instid0(VALU_DEP_2) | instskip(NEXT) | instid1(VALU_DEP_2)
	v_add_co_u32 v48, vcc_lo, v46, s2
	v_add_co_ci_u32_e32 v49, vcc_lo, s3, v47, vcc_lo
	s_delay_alu instid0(VALU_DEP_2) | instskip(NEXT) | instid1(VALU_DEP_2)
	;; [unrolled: 3-line block ×3, first 2 shown]
	v_add_co_u32 v2, vcc_lo, v0, s2
	v_add_co_ci_u32_e32 v3, vcc_lo, s3, v1, vcc_lo
	global_store_b128 v[44:45], v[20:23], off
	global_store_b128 v[46:47], v[24:27], off
	;; [unrolled: 1-line block ×5, first 2 shown]
.LBB0_26:
	s_nop 0
	s_sendmsg sendmsg(MSG_DEALLOC_VGPRS)
	s_endpgm
	.section	.rodata,"a",@progbits
	.p2align	6, 0x0
	.amdhsa_kernel bluestein_single_back_len270_dim1_dp_op_CI_CI
		.amdhsa_group_segment_fixed_size 17280
		.amdhsa_private_segment_fixed_size 0
		.amdhsa_kernarg_size 104
		.amdhsa_user_sgpr_count 15
		.amdhsa_user_sgpr_dispatch_ptr 0
		.amdhsa_user_sgpr_queue_ptr 0
		.amdhsa_user_sgpr_kernarg_segment_ptr 1
		.amdhsa_user_sgpr_dispatch_id 0
		.amdhsa_user_sgpr_private_segment_size 0
		.amdhsa_wavefront_size32 1
		.amdhsa_uses_dynamic_stack 0
		.amdhsa_enable_private_segment 0
		.amdhsa_system_sgpr_workgroup_id_x 1
		.amdhsa_system_sgpr_workgroup_id_y 0
		.amdhsa_system_sgpr_workgroup_id_z 0
		.amdhsa_system_sgpr_workgroup_info 0
		.amdhsa_system_vgpr_workitem_id 0
		.amdhsa_next_free_vgpr 243
		.amdhsa_next_free_sgpr 22
		.amdhsa_reserve_vcc 1
		.amdhsa_float_round_mode_32 0
		.amdhsa_float_round_mode_16_64 0
		.amdhsa_float_denorm_mode_32 3
		.amdhsa_float_denorm_mode_16_64 3
		.amdhsa_dx10_clamp 1
		.amdhsa_ieee_mode 1
		.amdhsa_fp16_overflow 0
		.amdhsa_workgroup_processor_mode 1
		.amdhsa_memory_ordered 1
		.amdhsa_forward_progress 0
		.amdhsa_shared_vgpr_count 0
		.amdhsa_exception_fp_ieee_invalid_op 0
		.amdhsa_exception_fp_denorm_src 0
		.amdhsa_exception_fp_ieee_div_zero 0
		.amdhsa_exception_fp_ieee_overflow 0
		.amdhsa_exception_fp_ieee_underflow 0
		.amdhsa_exception_fp_ieee_inexact 0
		.amdhsa_exception_int_div_zero 0
	.end_amdhsa_kernel
	.text
.Lfunc_end0:
	.size	bluestein_single_back_len270_dim1_dp_op_CI_CI, .Lfunc_end0-bluestein_single_back_len270_dim1_dp_op_CI_CI
                                        ; -- End function
	.section	.AMDGPU.csdata,"",@progbits
; Kernel info:
; codeLenInByte = 12800
; NumSgprs: 24
; NumVgprs: 243
; ScratchSize: 0
; MemoryBound: 0
; FloatMode: 240
; IeeeMode: 1
; LDSByteSize: 17280 bytes/workgroup (compile time only)
; SGPRBlocks: 2
; VGPRBlocks: 30
; NumSGPRsForWavesPerEU: 24
; NumVGPRsForWavesPerEU: 243
; Occupancy: 5
; WaveLimiterHint : 1
; COMPUTE_PGM_RSRC2:SCRATCH_EN: 0
; COMPUTE_PGM_RSRC2:USER_SGPR: 15
; COMPUTE_PGM_RSRC2:TRAP_HANDLER: 0
; COMPUTE_PGM_RSRC2:TGID_X_EN: 1
; COMPUTE_PGM_RSRC2:TGID_Y_EN: 0
; COMPUTE_PGM_RSRC2:TGID_Z_EN: 0
; COMPUTE_PGM_RSRC2:TIDIG_COMP_CNT: 0
	.text
	.p2alignl 7, 3214868480
	.fill 96, 4, 3214868480
	.type	__hip_cuid_532e2e4c7855a7a1,@object ; @__hip_cuid_532e2e4c7855a7a1
	.section	.bss,"aw",@nobits
	.globl	__hip_cuid_532e2e4c7855a7a1
__hip_cuid_532e2e4c7855a7a1:
	.byte	0                               ; 0x0
	.size	__hip_cuid_532e2e4c7855a7a1, 1

	.ident	"AMD clang version 19.0.0git (https://github.com/RadeonOpenCompute/llvm-project roc-6.4.0 25133 c7fe45cf4b819c5991fe208aaa96edf142730f1d)"
	.section	".note.GNU-stack","",@progbits
	.addrsig
	.addrsig_sym __hip_cuid_532e2e4c7855a7a1
	.amdgpu_metadata
---
amdhsa.kernels:
  - .args:
      - .actual_access:  read_only
        .address_space:  global
        .offset:         0
        .size:           8
        .value_kind:     global_buffer
      - .actual_access:  read_only
        .address_space:  global
        .offset:         8
        .size:           8
        .value_kind:     global_buffer
      - .actual_access:  read_only
        .address_space:  global
        .offset:         16
        .size:           8
        .value_kind:     global_buffer
      - .actual_access:  read_only
        .address_space:  global
        .offset:         24
        .size:           8
        .value_kind:     global_buffer
      - .actual_access:  read_only
        .address_space:  global
        .offset:         32
        .size:           8
        .value_kind:     global_buffer
      - .offset:         40
        .size:           8
        .value_kind:     by_value
      - .address_space:  global
        .offset:         48
        .size:           8
        .value_kind:     global_buffer
      - .address_space:  global
        .offset:         56
        .size:           8
        .value_kind:     global_buffer
      - .address_space:  global
        .offset:         64
        .size:           8
        .value_kind:     global_buffer
      - .address_space:  global
        .offset:         72
        .size:           8
        .value_kind:     global_buffer
      - .offset:         80
        .size:           4
        .value_kind:     by_value
      - .address_space:  global
        .offset:         88
        .size:           8
        .value_kind:     global_buffer
      - .address_space:  global
        .offset:         96
        .size:           8
        .value_kind:     global_buffer
    .group_segment_fixed_size: 17280
    .kernarg_segment_align: 8
    .kernarg_segment_size: 104
    .language:       OpenCL C
    .language_version:
      - 2
      - 0
    .max_flat_workgroup_size: 108
    .name:           bluestein_single_back_len270_dim1_dp_op_CI_CI
    .private_segment_fixed_size: 0
    .sgpr_count:     24
    .sgpr_spill_count: 0
    .symbol:         bluestein_single_back_len270_dim1_dp_op_CI_CI.kd
    .uniform_work_group_size: 1
    .uses_dynamic_stack: false
    .vgpr_count:     243
    .vgpr_spill_count: 0
    .wavefront_size: 32
    .workgroup_processor_mode: 1
amdhsa.target:   amdgcn-amd-amdhsa--gfx1100
amdhsa.version:
  - 1
  - 2
...

	.end_amdgpu_metadata
